;; amdgpu-corpus repo=ROCm/rocFFT kind=compiled arch=gfx906 opt=O3
	.text
	.amdgcn_target "amdgcn-amd-amdhsa--gfx906"
	.amdhsa_code_object_version 6
	.protected	fft_rtc_back_len90_factors_3_3_10_wgs_63_tpt_9_halfLds_half_ip_CI_unitstride_sbrr_C2R_dirReg ; -- Begin function fft_rtc_back_len90_factors_3_3_10_wgs_63_tpt_9_halfLds_half_ip_CI_unitstride_sbrr_C2R_dirReg
	.globl	fft_rtc_back_len90_factors_3_3_10_wgs_63_tpt_9_halfLds_half_ip_CI_unitstride_sbrr_C2R_dirReg
	.p2align	8
	.type	fft_rtc_back_len90_factors_3_3_10_wgs_63_tpt_9_halfLds_half_ip_CI_unitstride_sbrr_C2R_dirReg,@function
fft_rtc_back_len90_factors_3_3_10_wgs_63_tpt_9_halfLds_half_ip_CI_unitstride_sbrr_C2R_dirReg: ; @fft_rtc_back_len90_factors_3_3_10_wgs_63_tpt_9_halfLds_half_ip_CI_unitstride_sbrr_C2R_dirReg
; %bb.0:
	s_load_dwordx2 s[2:3], s[4:5], 0x50
	s_load_dwordx4 s[8:11], s[4:5], 0x0
	s_load_dwordx2 s[12:13], s[4:5], 0x18
	v_mul_u32_u24_e32 v1, 0x1c72, v0
	v_lshrrev_b32_e32 v1, 16, v1
	v_mad_u64_u32 v[1:2], s[0:1], s6, 7, v[1:2]
	v_mov_b32_e32 v5, 0
	s_waitcnt lgkmcnt(0)
	v_cmp_lt_u64_e64 s[0:1], s[10:11], 2
	v_mov_b32_e32 v2, v5
	v_mov_b32_e32 v3, 0
	;; [unrolled: 1-line block ×3, first 2 shown]
	s_and_b64 vcc, exec, s[0:1]
	v_mov_b32_e32 v4, 0
	v_mov_b32_e32 v9, v1
	s_cbranch_vccnz .LBB0_8
; %bb.1:
	s_load_dwordx2 s[0:1], s[4:5], 0x10
	s_add_u32 s6, s12, 8
	s_addc_u32 s7, s13, 0
	v_mov_b32_e32 v3, 0
	v_mov_b32_e32 v8, v2
	s_waitcnt lgkmcnt(0)
	s_add_u32 s16, s0, 8
	s_mov_b64 s[14:15], 1
	v_mov_b32_e32 v4, 0
	s_addc_u32 s17, s1, 0
	v_mov_b32_e32 v7, v1
.LBB0_2:                                ; =>This Inner Loop Header: Depth=1
	s_load_dwordx2 s[18:19], s[16:17], 0x0
                                        ; implicit-def: $vgpr9_vgpr10
	s_waitcnt lgkmcnt(0)
	v_or_b32_e32 v6, s19, v8
	v_cmp_ne_u64_e32 vcc, 0, v[5:6]
	s_and_saveexec_b64 s[0:1], vcc
	s_xor_b64 s[20:21], exec, s[0:1]
	s_cbranch_execz .LBB0_4
; %bb.3:                                ;   in Loop: Header=BB0_2 Depth=1
	v_cvt_f32_u32_e32 v2, s18
	v_cvt_f32_u32_e32 v6, s19
	s_sub_u32 s0, 0, s18
	s_subb_u32 s1, 0, s19
	v_mac_f32_e32 v2, 0x4f800000, v6
	v_rcp_f32_e32 v2, v2
	v_mul_f32_e32 v2, 0x5f7ffffc, v2
	v_mul_f32_e32 v6, 0x2f800000, v2
	v_trunc_f32_e32 v6, v6
	v_mac_f32_e32 v2, 0xcf800000, v6
	v_cvt_u32_f32_e32 v6, v6
	v_cvt_u32_f32_e32 v2, v2
	v_mul_lo_u32 v9, s0, v6
	v_mul_hi_u32 v10, s0, v2
	v_mul_lo_u32 v12, s1, v2
	v_mul_lo_u32 v11, s0, v2
	v_add_u32_e32 v9, v10, v9
	v_add_u32_e32 v9, v9, v12
	v_mul_hi_u32 v10, v2, v11
	v_mul_lo_u32 v12, v2, v9
	v_mul_hi_u32 v14, v2, v9
	v_mul_hi_u32 v13, v6, v11
	v_mul_lo_u32 v11, v6, v11
	v_mul_hi_u32 v15, v6, v9
	v_add_co_u32_e32 v10, vcc, v10, v12
	v_addc_co_u32_e32 v12, vcc, 0, v14, vcc
	v_mul_lo_u32 v9, v6, v9
	v_add_co_u32_e32 v10, vcc, v10, v11
	v_addc_co_u32_e32 v10, vcc, v12, v13, vcc
	v_addc_co_u32_e32 v11, vcc, 0, v15, vcc
	v_add_co_u32_e32 v9, vcc, v10, v9
	v_addc_co_u32_e32 v10, vcc, 0, v11, vcc
	v_add_co_u32_e32 v2, vcc, v2, v9
	v_addc_co_u32_e32 v6, vcc, v6, v10, vcc
	v_mul_lo_u32 v9, s0, v6
	v_mul_hi_u32 v10, s0, v2
	v_mul_lo_u32 v11, s1, v2
	v_mul_lo_u32 v12, s0, v2
	v_add_u32_e32 v9, v10, v9
	v_add_u32_e32 v9, v9, v11
	v_mul_lo_u32 v13, v2, v9
	v_mul_hi_u32 v14, v2, v12
	v_mul_hi_u32 v15, v2, v9
	;; [unrolled: 1-line block ×3, first 2 shown]
	v_mul_lo_u32 v12, v6, v12
	v_mul_hi_u32 v10, v6, v9
	v_add_co_u32_e32 v13, vcc, v14, v13
	v_addc_co_u32_e32 v14, vcc, 0, v15, vcc
	v_mul_lo_u32 v9, v6, v9
	v_add_co_u32_e32 v12, vcc, v13, v12
	v_addc_co_u32_e32 v11, vcc, v14, v11, vcc
	v_addc_co_u32_e32 v10, vcc, 0, v10, vcc
	v_add_co_u32_e32 v9, vcc, v11, v9
	v_addc_co_u32_e32 v10, vcc, 0, v10, vcc
	v_add_co_u32_e32 v2, vcc, v2, v9
	v_addc_co_u32_e32 v6, vcc, v6, v10, vcc
	v_mad_u64_u32 v[9:10], s[0:1], v7, v6, 0
	v_mul_hi_u32 v11, v7, v2
	v_add_co_u32_e32 v13, vcc, v11, v9
	v_addc_co_u32_e32 v14, vcc, 0, v10, vcc
	v_mad_u64_u32 v[9:10], s[0:1], v8, v2, 0
	v_mad_u64_u32 v[11:12], s[0:1], v8, v6, 0
	v_add_co_u32_e32 v2, vcc, v13, v9
	v_addc_co_u32_e32 v2, vcc, v14, v10, vcc
	v_addc_co_u32_e32 v6, vcc, 0, v12, vcc
	v_add_co_u32_e32 v2, vcc, v2, v11
	v_addc_co_u32_e32 v6, vcc, 0, v6, vcc
	v_mul_lo_u32 v11, s19, v2
	v_mul_lo_u32 v12, s18, v6
	v_mad_u64_u32 v[9:10], s[0:1], s18, v2, 0
	v_add3_u32 v10, v10, v12, v11
	v_sub_u32_e32 v11, v8, v10
	v_mov_b32_e32 v12, s19
	v_sub_co_u32_e32 v9, vcc, v7, v9
	v_subb_co_u32_e64 v11, s[0:1], v11, v12, vcc
	v_subrev_co_u32_e64 v12, s[0:1], s18, v9
	v_subbrev_co_u32_e64 v11, s[0:1], 0, v11, s[0:1]
	v_cmp_le_u32_e64 s[0:1], s19, v11
	v_cndmask_b32_e64 v13, 0, -1, s[0:1]
	v_cmp_le_u32_e64 s[0:1], s18, v12
	v_cndmask_b32_e64 v12, 0, -1, s[0:1]
	v_cmp_eq_u32_e64 s[0:1], s19, v11
	v_cndmask_b32_e64 v11, v13, v12, s[0:1]
	v_add_co_u32_e64 v12, s[0:1], 2, v2
	v_addc_co_u32_e64 v13, s[0:1], 0, v6, s[0:1]
	v_add_co_u32_e64 v14, s[0:1], 1, v2
	v_addc_co_u32_e64 v15, s[0:1], 0, v6, s[0:1]
	v_subb_co_u32_e32 v10, vcc, v8, v10, vcc
	v_cmp_ne_u32_e64 s[0:1], 0, v11
	v_cmp_le_u32_e32 vcc, s19, v10
	v_cndmask_b32_e64 v11, v15, v13, s[0:1]
	v_cndmask_b32_e64 v13, 0, -1, vcc
	v_cmp_le_u32_e32 vcc, s18, v9
	v_cndmask_b32_e64 v9, 0, -1, vcc
	v_cmp_eq_u32_e32 vcc, s19, v10
	v_cndmask_b32_e32 v9, v13, v9, vcc
	v_cmp_ne_u32_e32 vcc, 0, v9
	v_cndmask_b32_e32 v10, v6, v11, vcc
	v_cndmask_b32_e64 v6, v14, v12, s[0:1]
	v_cndmask_b32_e32 v9, v2, v6, vcc
.LBB0_4:                                ;   in Loop: Header=BB0_2 Depth=1
	s_andn2_saveexec_b64 s[0:1], s[20:21]
	s_cbranch_execz .LBB0_6
; %bb.5:                                ;   in Loop: Header=BB0_2 Depth=1
	v_cvt_f32_u32_e32 v2, s18
	s_sub_i32 s20, 0, s18
	v_rcp_iflag_f32_e32 v2, v2
	v_mul_f32_e32 v2, 0x4f7ffffe, v2
	v_cvt_u32_f32_e32 v2, v2
	v_mul_lo_u32 v6, s20, v2
	v_mul_hi_u32 v6, v2, v6
	v_add_u32_e32 v2, v2, v6
	v_mul_hi_u32 v2, v7, v2
	v_mul_lo_u32 v6, v2, s18
	v_add_u32_e32 v9, 1, v2
	v_sub_u32_e32 v6, v7, v6
	v_subrev_u32_e32 v10, s18, v6
	v_cmp_le_u32_e32 vcc, s18, v6
	v_cndmask_b32_e32 v6, v6, v10, vcc
	v_cndmask_b32_e32 v2, v2, v9, vcc
	v_add_u32_e32 v9, 1, v2
	v_cmp_le_u32_e32 vcc, s18, v6
	v_cndmask_b32_e32 v9, v2, v9, vcc
	v_mov_b32_e32 v10, v5
.LBB0_6:                                ;   in Loop: Header=BB0_2 Depth=1
	s_or_b64 exec, exec, s[0:1]
	v_mul_lo_u32 v2, v10, s18
	v_mul_lo_u32 v6, v9, s19
	v_mad_u64_u32 v[11:12], s[0:1], v9, s18, 0
	s_load_dwordx2 s[0:1], s[6:7], 0x0
	s_add_u32 s14, s14, 1
	v_add3_u32 v2, v12, v6, v2
	v_sub_co_u32_e32 v6, vcc, v7, v11
	v_subb_co_u32_e32 v2, vcc, v8, v2, vcc
	s_waitcnt lgkmcnt(0)
	v_mul_lo_u32 v2, s0, v2
	v_mul_lo_u32 v7, s1, v6
	v_mad_u64_u32 v[3:4], s[0:1], s0, v6, v[3:4]
	s_addc_u32 s15, s15, 0
	s_add_u32 s6, s6, 8
	v_add3_u32 v4, v7, v4, v2
	v_mov_b32_e32 v6, s10
	v_mov_b32_e32 v7, s11
	s_addc_u32 s7, s7, 0
	v_cmp_ge_u64_e32 vcc, s[14:15], v[6:7]
	s_add_u32 s16, s16, 8
	s_addc_u32 s17, s17, 0
	s_cbranch_vccnz .LBB0_8
; %bb.7:                                ;   in Loop: Header=BB0_2 Depth=1
	v_mov_b32_e32 v7, v9
	v_mov_b32_e32 v8, v10
	s_branch .LBB0_2
.LBB0_8:
	s_lshl_b64 s[0:1], s[10:11], 3
	s_add_u32 s0, s12, s0
	s_addc_u32 s1, s13, s1
	s_load_dwordx2 s[6:7], s[0:1], 0x0
	s_load_dwordx2 s[10:11], s[4:5], 0x20
	s_mov_b32 s0, 0x24924925
	v_mul_hi_u32 v5, v1, s0
	s_waitcnt lgkmcnt(0)
	v_mad_u64_u32 v[2:3], s[0:1], s6, v9, v[3:4]
	v_sub_u32_e32 v4, v1, v5
	v_lshrrev_b32_e32 v4, 1, v4
	v_add_u32_e32 v4, v4, v5
	v_lshrrev_b32_e32 v4, 2, v4
	v_mul_lo_u32 v6, s6, v10
	v_mul_lo_u32 v7, s7, v9
	;; [unrolled: 1-line block ×3, first 2 shown]
	s_mov_b32 s0, 0x1c71c71d
	v_mul_hi_u32 v5, v0, s0
	v_add3_u32 v3, v7, v3, v6
	v_sub_u32_e32 v1, v1, v4
	v_mul_u32_u24_e32 v6, 0x5b, v1
	v_cmp_gt_u64_e32 vcc, s[10:11], v[9:10]
	v_mul_u32_u24_e32 v1, 9, v5
	v_lshlrev_b64 v[2:3], 2, v[2:3]
	v_sub_u32_e32 v0, v0, v1
	v_lshlrev_b32_e32 v16, 2, v6
	s_and_saveexec_b64 s[4:5], vcc
	s_cbranch_execz .LBB0_12
; %bb.9:
	v_mov_b32_e32 v1, 0
	v_mov_b32_e32 v5, s3
	v_add_co_u32_e64 v4, s[0:1], s2, v2
	v_lshlrev_b64 v[7:8], 2, v[0:1]
	v_addc_co_u32_e64 v5, s[0:1], v5, v3, s[0:1]
	v_add_co_u32_e64 v7, s[0:1], v4, v7
	v_addc_co_u32_e64 v8, s[0:1], v5, v8, s[0:1]
	global_load_dword v9, v[7:8], off
	global_load_dword v10, v[7:8], off offset:36
	global_load_dword v11, v[7:8], off offset:72
	;; [unrolled: 1-line block ×9, first 2 shown]
	v_lshlrev_b32_e32 v1, 2, v0
	v_add3_u32 v1, 0, v16, v1
	v_cmp_eq_u32_e64 s[0:1], 8, v0
	s_waitcnt vmcnt(8)
	ds_write2_b32 v1, v9, v10 offset1:9
	s_waitcnt vmcnt(6)
	ds_write2_b32 v1, v11, v12 offset0:18 offset1:27
	s_waitcnt vmcnt(4)
	ds_write2_b32 v1, v13, v14 offset0:36 offset1:45
	;; [unrolled: 2-line block ×4, first 2 shown]
	s_and_saveexec_b64 s[6:7], s[0:1]
	s_cbranch_execz .LBB0_11
; %bb.10:
	global_load_dword v0, v[4:5], off offset:360
	s_waitcnt vmcnt(0)
	ds_write_b32 v1, v0 offset:328
	v_mov_b32_e32 v0, 8
.LBB0_11:
	s_or_b64 exec, exec, s[6:7]
.LBB0_12:
	s_or_b64 exec, exec, s[4:5]
	v_lshl_add_u32 v14, v6, 2, 0
	v_lshlrev_b32_e32 v1, 2, v0
	v_add_u32_e32 v15, v14, v1
	s_waitcnt lgkmcnt(0)
	; wave barrier
	s_waitcnt lgkmcnt(0)
	v_sub_u32_e32 v7, v14, v1
	ds_read_u16 v10, v15
	ds_read_u16 v11, v7 offset:360
	v_cmp_ne_u32_e64 s[0:1], 0, v0
                                        ; implicit-def: $vgpr4_vgpr5
	s_waitcnt lgkmcnt(0)
	v_add_f16_e32 v8, v11, v10
	v_sub_f16_e32 v9, v10, v11
	s_and_saveexec_b64 s[4:5], s[0:1]
	s_xor_b64 s[4:5], exec, s[4:5]
	s_cbranch_execz .LBB0_14
; %bb.13:
	v_mov_b32_e32 v1, 0
	v_lshlrev_b64 v[4:5], 2, v[0:1]
	v_mov_b32_e32 v8, s9
	v_add_co_u32_e64 v4, s[0:1], s8, v4
	v_addc_co_u32_e64 v5, s[0:1], v8, v5, s[0:1]
	global_load_dword v4, v[4:5], off offset:348
	ds_read_u16 v5, v7 offset:362
	ds_read_u16 v8, v15 offset:2
	v_add_f16_e32 v9, v11, v10
	v_sub_f16_e32 v10, v10, v11
	s_waitcnt lgkmcnt(0)
	v_add_f16_e32 v11, v5, v8
	v_sub_f16_e32 v5, v8, v5
	s_waitcnt vmcnt(0)
	v_lshrrev_b32_e32 v8, 16, v4
	v_fma_f16 v12, v10, v8, v9
	v_fma_f16 v13, v11, v8, v5
	v_fma_f16 v17, -v10, v8, v9
	v_fma_f16 v5, v11, v8, -v5
	v_fma_f16 v8, -v4, v11, v12
	v_fma_f16 v9, v10, v4, v13
	v_fma_f16 v11, v4, v11, v17
	;; [unrolled: 1-line block ×3, first 2 shown]
	v_pack_b32_f16 v4, v11, v4
	ds_write_b32 v7, v4 offset:360
	v_mov_b32_e32 v5, v1
	v_mov_b32_e32 v4, v0
.LBB0_14:
	s_andn2_saveexec_b64 s[0:1], s[4:5]
	s_cbranch_execz .LBB0_16
; %bb.15:
	ds_read_b32 v1, v14 offset:180
	s_mov_b32 s4, 0xc0004000
	v_mov_b32_e32 v4, 0
	v_mov_b32_e32 v5, 0
	s_waitcnt lgkmcnt(0)
	v_pk_mul_f16 v1, v1, s4
	ds_write_b32 v14, v1 offset:180
.LBB0_16:
	s_or_b64 exec, exec, s[0:1]
	s_add_u32 s0, s8, 0x15c
	v_lshlrev_b64 v[4:5], 2, v[4:5]
	s_addc_u32 s1, s9, 0
	v_mov_b32_e32 v1, s1
	v_add_co_u32_e64 v4, s[0:1], s0, v4
	v_addc_co_u32_e64 v5, s[0:1], v1, v5, s[0:1]
	global_load_dword v1, v[4:5], off offset:36
	global_load_dword v10, v[4:5], off offset:72
	;; [unrolled: 1-line block ×4, first 2 shown]
	s_mov_b32 s0, 0x5040100
	v_perm_b32 v4, v9, v8, s0
	ds_write_b32 v15, v4
	ds_read_b32 v4, v15 offset:36
	ds_read_b32 v5, v7 offset:324
	s_movk_i32 s0, 0x3aee
	s_mov_b32 s6, 0xffff
	s_waitcnt lgkmcnt(0)
	v_add_f16_e32 v8, v4, v5
	v_add_f16_sdwa v9, v5, v4 dst_sel:DWORD dst_unused:UNUSED_PAD src0_sel:WORD_1 src1_sel:WORD_1
	v_sub_f16_e32 v13, v4, v5
	v_sub_f16_sdwa v4, v4, v5 dst_sel:DWORD dst_unused:UNUSED_PAD src0_sel:WORD_1 src1_sel:WORD_1
	s_waitcnt vmcnt(3)
	v_lshrrev_b32_e32 v5, 16, v1
	v_fma_f16 v17, v13, v5, v8
	v_fma_f16 v18, v9, v5, v4
	v_fma_f16 v8, -v13, v5, v8
	v_fma_f16 v4, v9, v5, -v4
	v_fma_f16 v5, -v1, v9, v17
	v_fma_f16 v17, v13, v1, v18
	v_fma_f16 v8, v1, v9, v8
	;; [unrolled: 1-line block ×3, first 2 shown]
	v_pack_b32_f16 v4, v5, v17
	v_pack_b32_f16 v1, v8, v1
	ds_write_b32 v15, v4 offset:36
	ds_write_b32 v7, v1 offset:324
	ds_read_b32 v1, v15 offset:72
	ds_read_b32 v4, v7 offset:288
	s_waitcnt vmcnt(2)
	v_lshrrev_b32_e32 v8, 16, v10
	v_xor_b32_e32 v5, 63, v0
	v_lshl_add_u32 v5, v5, 2, v14
	s_waitcnt lgkmcnt(0)
	v_add_f16_e32 v9, v1, v4
	v_add_f16_sdwa v13, v4, v1 dst_sel:DWORD dst_unused:UNUSED_PAD src0_sel:WORD_1 src1_sel:WORD_1
	v_sub_f16_e32 v17, v1, v4
	v_sub_f16_sdwa v1, v1, v4 dst_sel:DWORD dst_unused:UNUSED_PAD src0_sel:WORD_1 src1_sel:WORD_1
	v_fma_f16 v4, v17, v8, v9
	v_fma_f16 v18, v13, v8, v1
	v_fma_f16 v9, -v17, v8, v9
	v_fma_f16 v1, v13, v8, -v1
	v_fma_f16 v4, -v10, v13, v4
	v_fma_f16 v8, v17, v10, v18
	v_fma_f16 v9, v10, v13, v9
	v_fma_f16 v1, v17, v10, v1
	v_pack_b32_f16 v4, v4, v8
	v_pack_b32_f16 v1, v9, v1
	ds_write_b32 v15, v4 offset:72
	ds_write_b32 v7, v1 offset:288
	ds_read_b32 v1, v15 offset:108
	ds_read_b32 v4, v5
	s_waitcnt vmcnt(1)
	v_lshrrev_b32_e32 v9, 16, v11
	v_lshl_add_u32 v8, v0, 2, 0
	v_lshlrev_b32_e32 v10, 3, v0
	s_waitcnt lgkmcnt(0)
	v_add_f16_e32 v13, v1, v4
	v_add_f16_sdwa v17, v4, v1 dst_sel:DWORD dst_unused:UNUSED_PAD src0_sel:WORD_1 src1_sel:WORD_1
	v_sub_f16_e32 v18, v1, v4
	v_sub_f16_sdwa v1, v1, v4 dst_sel:DWORD dst_unused:UNUSED_PAD src0_sel:WORD_1 src1_sel:WORD_1
	v_fma_f16 v4, v18, v9, v13
	v_fma_f16 v19, v17, v9, v1
	v_fma_f16 v13, -v18, v9, v13
	v_fma_f16 v1, v17, v9, -v1
	v_fma_f16 v4, -v11, v17, v4
	v_fma_f16 v9, v18, v11, v19
	v_fma_f16 v13, v11, v17, v13
	;; [unrolled: 1-line block ×3, first 2 shown]
	v_pack_b32_f16 v4, v4, v9
	v_pack_b32_f16 v1, v13, v1
	ds_write_b32 v15, v4 offset:108
	ds_write_b32 v5, v1
	ds_read_b32 v4, v15 offset:144
	ds_read_b32 v5, v7 offset:216
	v_add_u32_e32 v1, v8, v16
	v_add_u32_e32 v11, v8, v10
	s_waitcnt vmcnt(0)
	v_lshrrev_b32_e32 v8, 16, v12
	s_waitcnt lgkmcnt(0)
	v_add_f16_e32 v9, v4, v5
	v_add_f16_sdwa v13, v5, v4 dst_sel:DWORD dst_unused:UNUSED_PAD src0_sel:WORD_1 src1_sel:WORD_1
	v_sub_f16_e32 v17, v4, v5
	v_sub_f16_sdwa v4, v4, v5 dst_sel:DWORD dst_unused:UNUSED_PAD src0_sel:WORD_1 src1_sel:WORD_1
	v_fma_f16 v5, v17, v8, v9
	v_fma_f16 v18, v13, v8, v4
	v_fma_f16 v9, -v17, v8, v9
	v_fma_f16 v4, v13, v8, -v4
	v_fma_f16 v5, -v12, v13, v5
	v_fma_f16 v8, v17, v12, v18
	v_fma_f16 v9, v12, v13, v9
	;; [unrolled: 1-line block ×3, first 2 shown]
	v_pack_b32_f16 v5, v5, v8
	v_pack_b32_f16 v4, v9, v4
	ds_write_b32 v15, v5 offset:144
	ds_write_b32 v7, v4 offset:216
	s_waitcnt lgkmcnt(0)
	; wave barrier
	s_waitcnt lgkmcnt(0)
	s_waitcnt lgkmcnt(0)
	; wave barrier
	s_waitcnt lgkmcnt(0)
	ds_read2_b32 v[4:5], v1 offset0:27 offset1:30
	ds_read2_b32 v[7:8], v1 offset0:57 offset1:60
	ds_read_b32 v9, v1 offset:348
	ds_read_b32 v17, v15
	ds_read2_b32 v[12:13], v1 offset0:39 offset1:48
	ds_read2_b32 v[19:20], v1 offset0:69 offset1:78
	;; [unrolled: 1-line block ×3, first 2 shown]
	s_waitcnt lgkmcnt(5)
	v_pk_add_f16 v18, v4, v7
	s_waitcnt lgkmcnt(4)
	v_pk_add_f16 v23, v7, v9
	;; [unrolled: 2-line block ×3, first 2 shown]
	v_pk_add_f16 v25, v5, v8
	v_pk_add_f16 v5, v5, v8 neg_lo:[0,1] neg_hi:[0,1]
	v_pk_add_f16 v7, v7, v9 neg_lo:[0,1] neg_hi:[0,1]
	v_pk_fma_f16 v4, v23, 0.5, v4 op_sel_hi:[1,0,1] neg_lo:[1,0,0] neg_hi:[1,0,0]
	v_pk_mul_f16 v7, v7, s0 op_sel_hi:[1,0]
	v_pk_fma_f16 v17, v25, 0.5, v17 op_sel_hi:[1,0,1] neg_lo:[1,0,0] neg_hi:[1,0,0]
	v_pk_mul_f16 v23, v5, s0 op_sel_hi:[1,0]
	v_pk_add_f16 v5, v4, v7 op_sel:[0,1] op_sel_hi:[1,0]
	v_pk_add_f16 v4, v4, v7 op_sel:[0,1] op_sel_hi:[1,0] neg_lo:[0,1] neg_hi:[0,1]
	v_pk_add_f16 v7, v17, v23 op_sel:[0,1] op_sel_hi:[1,0] neg_lo:[0,1] neg_hi:[0,1]
	v_pk_add_f16 v17, v17, v23 op_sel:[0,1] op_sel_hi:[1,0]
	v_pk_add_f16 v8, v24, v8
	v_add_u32_e32 v23, v11, v16
	v_bfi_b32 v24, s6, v7, v17
	s_waitcnt lgkmcnt(0)
	; wave barrier
	s_waitcnt lgkmcnt(0)
	ds_write2_b32 v23, v8, v24 offset1:1
	v_pk_add_f16 v8, v12, v19
	v_pk_add_f16 v24, v12, v19 neg_lo:[0,1] neg_hi:[0,1]
	v_pk_fma_f16 v8, v8, 0.5, v21 op_sel_hi:[1,0,1] neg_lo:[1,0,0] neg_hi:[1,0,0]
	v_pk_mul_f16 v24, v24, s0 op_sel_hi:[1,0]
	v_pk_add_f16 v25, v8, v24 op_sel:[0,1] op_sel_hi:[1,0] neg_lo:[0,1] neg_hi:[0,1]
	v_pk_add_f16 v8, v8, v24 op_sel:[0,1] op_sel_hi:[1,0]
	v_pk_add_f16 v12, v21, v12
	v_pk_add_f16 v12, v12, v19
	v_bfi_b32 v19, s6, v25, v8
	v_bfi_b32 v7, s6, v17, v7
	v_bfi_b32 v8, s6, v8, v25
	v_pk_add_f16 v18, v18, v9
	ds_write2_b32 v23, v7, v8 offset0:2 offset1:29
	v_pk_add_f16 v8, v13, v20
	v_pk_add_f16 v9, v22, v13
	v_pk_add_f16 v13, v13, v20 neg_lo:[0,1] neg_hi:[0,1]
	v_pk_fma_f16 v8, v8, 0.5, v22 op_sel_hi:[1,0,1] neg_lo:[1,0,0] neg_hi:[1,0,0]
	v_pk_mul_f16 v13, v13, s0 op_sel_hi:[1,0]
	v_add_u32_e32 v7, 0xd8, v11
	v_pk_add_f16 v17, v8, v13 op_sel:[0,1] op_sel_hi:[1,0] neg_lo:[0,1] neg_hi:[0,1]
	v_pk_add_f16 v8, v8, v13 op_sel:[0,1] op_sel_hi:[1,0]
	ds_write2_b32 v23, v12, v19 offset0:27 offset1:28
	v_lshrrev_b32_e32 v19, 16, v4
	v_add_u32_e32 v12, v7, v16
	v_pk_add_f16 v9, v9, v20
	v_bfi_b32 v13, s6, v17, v8
	v_bfi_b32 v8, s6, v8, v17
	v_cmp_gt_u32_e64 s[0:1], 3, v0
	ds_write2_b32 v12, v9, v13 offset1:1
	ds_write_b32 v12, v8 offset:8
	s_and_saveexec_b64 s[4:5], s[0:1]
	s_cbranch_execz .LBB0_18
; %bb.17:
	v_bfi_b32 v8, s6, v4, v5
	v_lshl_add_u32 v7, v6, 2, v7
	ds_write2_b32 v7, v18, v8 offset0:27 offset1:28
	ds_write_b16 v7, v5 offset:116
	ds_write_b16 v7, v19 offset:118
.LBB0_18:
	s_or_b64 exec, exec, s[4:5]
	v_sub_u32_e32 v7, v11, v10
	s_waitcnt lgkmcnt(0)
	; wave barrier
	s_waitcnt lgkmcnt(0)
	ds_read_b32 v22, v15
	ds_read2_b32 v[12:13], v1 offset0:30 offset1:39
	ds_read2_b32 v[8:9], v1 offset0:48 offset1:60
	v_lshl_add_u32 v17, v6, 2, v7
	ds_read2_b32 v[6:7], v17 offset0:9 offset1:18
	ds_read2_b32 v[10:11], v1 offset0:69 offset1:78
	v_lshrrev_b32_e32 v20, 16, v5
	s_and_saveexec_b64 s[4:5], s[0:1]
	s_cbranch_execz .LBB0_20
; %bb.19:
	ds_read2_b32 v[4:5], v1 offset0:57 offset1:87
	ds_read_b32 v18, v17 offset:108
	s_waitcnt lgkmcnt(1)
	v_lshrrev_b32_e32 v19, 16, v5
	v_lshrrev_b32_e32 v20, 16, v4
.LBB0_20:
	s_or_b64 exec, exec, s[4:5]
	s_movk_i32 s6, 0xab
	v_mul_lo_u16_sdwa v21, v0, s6 dst_sel:DWORD dst_unused:UNUSED_PAD src0_sel:BYTE_0 src1_sel:DWORD
	v_lshrrev_b16_e32 v30, 9, v21
	v_mul_lo_u16_e32 v21, 3, v30
	v_sub_u16_e32 v31, v0, v21
	v_mov_b32_e32 v21, 3
	v_lshlrev_b32_sdwa v23, v21, v31 dst_sel:DWORD dst_unused:UNUSED_PAD src0_sel:DWORD src1_sel:BYTE_0
	v_add_u16_e32 v26, 9, v0
	global_load_dwordx2 v[24:25], v23, s[8:9]
	v_mul_lo_u16_sdwa v23, v26, s6 dst_sel:DWORD dst_unused:UNUSED_PAD src0_sel:BYTE_0 src1_sel:DWORD
	v_lshrrev_b16_e32 v32, 9, v23
	v_mul_lo_u16_e32 v23, 3, v32
	v_sub_u16_e32 v33, v26, v23
	v_lshlrev_b32_sdwa v23, v21, v33 dst_sel:DWORD dst_unused:UNUSED_PAD src0_sel:DWORD src1_sel:BYTE_0
	global_load_dwordx2 v[26:27], v23, s[8:9]
	v_add_u16_e32 v23, 18, v0
	v_mul_lo_u16_sdwa v28, v23, s6 dst_sel:DWORD dst_unused:UNUSED_PAD src0_sel:BYTE_0 src1_sel:DWORD
	v_lshrrev_b16_e32 v34, 9, v28
	v_mul_lo_u16_e32 v28, 3, v34
	v_sub_u16_e32 v35, v23, v28
	v_lshlrev_b32_sdwa v23, v21, v35 dst_sel:DWORD dst_unused:UNUSED_PAD src0_sel:DWORD src1_sel:BYTE_0
	global_load_dwordx2 v[28:29], v23, s[8:9]
	v_mov_b32_e32 v23, 2
	v_mad_u32_u24 v30, v30, 36, 0
	v_lshlrev_b32_sdwa v31, v23, v31 dst_sel:DWORD dst_unused:UNUSED_PAD src0_sel:DWORD src1_sel:BYTE_0
	s_waitcnt lgkmcnt(3)
	v_lshrrev_b32_e32 v36, 16, v12
	s_waitcnt lgkmcnt(2)
	v_lshrrev_b32_e32 v37, 16, v9
	v_add3_u32 v30, v30, v31, v16
	v_lshrrev_b32_e32 v38, 16, v13
	s_waitcnt lgkmcnt(0)
	v_lshrrev_b32_e32 v39, 16, v10
	v_lshrrev_b32_e32 v40, 16, v8
	;; [unrolled: 1-line block ×5, first 2 shown]
	s_mov_b32 s7, 0xbaee
	s_movk_i32 s10, 0x3aee
	s_waitcnt lgkmcnt(0)
	; wave barrier
	s_waitcnt vmcnt(2)
	v_mul_f16_sdwa v31, v24, v12 dst_sel:DWORD dst_unused:UNUSED_PAD src0_sel:WORD_1 src1_sel:DWORD
	v_mul_f16_sdwa v44, v24, v36 dst_sel:DWORD dst_unused:UNUSED_PAD src0_sel:WORD_1 src1_sel:DWORD
	;; [unrolled: 1-line block ×3, first 2 shown]
	v_fma_f16 v31, v24, v36, -v31
	v_mul_f16_sdwa v36, v25, v37 dst_sel:DWORD dst_unused:UNUSED_PAD src0_sel:WORD_1 src1_sel:DWORD
	v_fma_f16 v37, v25, v37, -v45
	s_waitcnt vmcnt(1)
	v_mul_f16_sdwa v45, v26, v38 dst_sel:DWORD dst_unused:UNUSED_PAD src0_sel:WORD_1 src1_sel:DWORD
	v_fma_f16 v12, v24, v12, v44
	v_fma_f16 v9, v25, v9, v36
	v_mul_f16_sdwa v24, v26, v13 dst_sel:DWORD dst_unused:UNUSED_PAD src0_sel:WORD_1 src1_sel:DWORD
	v_mul_f16_sdwa v25, v27, v10 dst_sel:DWORD dst_unused:UNUSED_PAD src0_sel:WORD_1 src1_sel:DWORD
	;; [unrolled: 1-line block ×3, first 2 shown]
	v_fma_f16 v13, v26, v13, v45
	s_waitcnt vmcnt(0)
	v_mul_f16_sdwa v44, v28, v40 dst_sel:DWORD dst_unused:UNUSED_PAD src0_sel:WORD_1 src1_sel:DWORD
	v_fma_f16 v24, v26, v38, -v24
	v_mul_f16_sdwa v26, v28, v8 dst_sel:DWORD dst_unused:UNUSED_PAD src0_sel:WORD_1 src1_sel:DWORD
	v_fma_f16 v25, v27, v39, -v25
	v_mul_f16_sdwa v38, v29, v41 dst_sel:DWORD dst_unused:UNUSED_PAD src0_sel:WORD_1 src1_sel:DWORD
	v_fma_f16 v10, v27, v10, v36
	v_mul_f16_sdwa v27, v29, v11 dst_sel:DWORD dst_unused:UNUSED_PAD src0_sel:WORD_1 src1_sel:DWORD
	v_fma_f16 v8, v28, v8, v44
	v_fma_f16 v11, v29, v11, v38
	v_fma_f16 v26, v28, v40, -v26
	v_fma_f16 v27, v29, v41, -v27
	v_add_f16_e32 v28, v22, v12
	v_add_f16_e32 v29, v12, v9
	v_sub_f16_e32 v36, v31, v37
	v_add_f16_e32 v38, v42, v31
	v_add_f16_e32 v31, v31, v37
	v_sub_f16_e32 v12, v12, v9
	v_sub_f16_e32 v41, v24, v25
	v_add_f16_e32 v44, v43, v24
	v_add_f16_e32 v24, v24, v25
	;; [unrolled: 1-line block ×3, first 2 shown]
	v_fma_f16 v22, v29, -0.5, v22
	v_add_f16_e32 v28, v38, v37
	v_fma_f16 v29, v31, -0.5, v42
	v_add_f16_e32 v39, v6, v13
	v_add_f16_e32 v40, v13, v10
	v_sub_f16_e32 v13, v13, v10
	v_fma_f16 v24, v24, -0.5, v43
	v_pack_b32_f16 v9, v9, v28
	v_fma_f16 v28, v36, s7, v22
	v_fma_f16 v31, v12, s10, v29
	;; [unrolled: 1-line block ×5, first 2 shown]
	v_pack_b32_f16 v24, v28, v31
	v_fma_f16 v12, v12, s7, v29
	ds_write2_b32 v30, v9, v24 offset1:3
	v_add_f16_e32 v9, v8, v11
	v_fma_f16 v6, v40, -0.5, v6
	v_fma_f16 v9, v9, -0.5, v7
	v_lshrrev_b32_e32 v24, 16, v7
	v_sub_f16_e32 v28, v26, v27
	v_pack_b32_f16 v12, v22, v12
	v_add_f16_e32 v10, v39, v10
	v_add_f16_e32 v25, v44, v25
	v_fma_f16 v29, v41, s7, v6
	v_fma_f16 v6, v41, s10, v6
	;; [unrolled: 1-line block ×4, first 2 shown]
	v_add_f16_e32 v28, v24, v26
	v_add_f16_e32 v26, v26, v27
	ds_write_b32 v30, v12 offset:24
	v_mad_u32_u24 v12, v32, 36, 0
	v_lshlrev_b32_sdwa v22, v23, v33 dst_sel:DWORD dst_unused:UNUSED_PAD src0_sel:DWORD src1_sel:BYTE_0
	v_add_f16_e32 v7, v7, v8
	v_fma_f16 v24, v26, -0.5, v24
	v_sub_f16_e32 v8, v8, v11
	v_add3_u32 v12, v12, v22, v16
	v_pack_b32_f16 v10, v10, v25
	v_pack_b32_f16 v22, v29, v36
	;; [unrolled: 1-line block ×3, first 2 shown]
	v_add_f16_e32 v28, v28, v27
	v_add_f16_e32 v7, v7, v11
	v_fma_f16 v11, v8, s10, v24
	ds_write2_b32 v12, v10, v22 offset1:3
	ds_write_b32 v12, v6 offset:24
	v_mad_u32_u24 v6, v34, 36, 0
	v_lshlrev_b32_sdwa v10, v23, v35 dst_sel:DWORD dst_unused:UNUSED_PAD src0_sel:DWORD src1_sel:BYTE_0
	v_fma_f16 v8, v8, s7, v24
	v_add3_u32 v6, v6, v10, v16
	v_pack_b32_f16 v7, v7, v28
	v_pack_b32_f16 v10, v31, v11
	ds_write2_b32 v6, v7, v10 offset1:3
	v_pack_b32_f16 v7, v9, v8
	ds_write_b32 v6, v7 offset:24
	s_and_saveexec_b64 s[4:5], s[0:1]
	s_cbranch_execz .LBB0_22
; %bb.21:
	v_add_u16_e32 v6, 27, v0
	v_mul_lo_u16_sdwa v7, v6, s6 dst_sel:DWORD dst_unused:UNUSED_PAD src0_sel:BYTE_0 src1_sel:DWORD
	v_lshrrev_b16_e32 v7, 9, v7
	v_mul_lo_u16_e32 v7, 3, v7
	v_sub_u16_e32 v8, v6, v7
	v_lshlrev_b32_sdwa v6, v21, v8 dst_sel:DWORD dst_unused:UNUSED_PAD src0_sel:DWORD src1_sel:BYTE_0
	global_load_dwordx2 v[6:7], v6, s[8:9]
	v_lshrrev_b32_e32 v9, 16, v18
	v_lshlrev_b32_sdwa v8, v23, v8 dst_sel:DWORD dst_unused:UNUSED_PAD src0_sel:DWORD src1_sel:BYTE_0
	v_add3_u32 v8, 0, v8, v16
	s_waitcnt vmcnt(0)
	v_mul_f16_sdwa v10, v4, v6 dst_sel:DWORD dst_unused:UNUSED_PAD src0_sel:DWORD src1_sel:WORD_1
	v_mul_f16_sdwa v11, v5, v7 dst_sel:DWORD dst_unused:UNUSED_PAD src0_sel:DWORD src1_sel:WORD_1
	;; [unrolled: 1-line block ×4, first 2 shown]
	v_fma_f16 v10, v20, v6, -v10
	v_fma_f16 v11, v19, v7, -v11
	v_fma_f16 v4, v4, v6, v12
	v_fma_f16 v5, v5, v7, v13
	v_add_f16_e32 v6, v10, v11
	v_add_f16_e32 v12, v9, v10
	;; [unrolled: 1-line block ×3, first 2 shown]
	v_sub_f16_e32 v7, v4, v5
	v_sub_f16_e32 v10, v10, v11
	v_add_f16_e32 v4, v18, v4
	v_fma_f16 v6, v6, -0.5, v9
	v_add_f16_e32 v9, v12, v11
	v_fma_f16 v11, v13, -0.5, v18
	v_add_f16_e32 v4, v4, v5
	v_fma_f16 v5, v7, s7, v6
	v_fma_f16 v6, v7, s10, v6
	;; [unrolled: 1-line block ×4, first 2 shown]
	v_pack_b32_f16 v4, v4, v9
	v_pack_b32_f16 v6, v10, v6
	;; [unrolled: 1-line block ×3, first 2 shown]
	ds_write2_b32 v8, v4, v6 offset0:81 offset1:84
	ds_write_b32 v8, v5 offset:348
.LBB0_22:
	s_or_b64 exec, exec, s[4:5]
	v_mul_u32_u24_e32 v4, 9, v0
	v_lshlrev_b32_e32 v12, 2, v4
	s_waitcnt lgkmcnt(0)
	; wave barrier
	s_waitcnt lgkmcnt(0)
	global_load_dwordx4 v[4:7], v12, s[8:9] offset:24
	global_load_dwordx4 v[8:11], v12, s[8:9] offset:40
	global_load_dword v22, v12, s[8:9] offset:56
	ds_read2_b32 v[12:13], v17 offset0:9 offset1:18
	ds_read2_b32 v[16:17], v1 offset0:27 offset1:36
	;; [unrolled: 1-line block ×4, first 2 shown]
	ds_read_b32 v15, v15
	ds_read_b32 v23, v1 offset:324
	s_waitcnt lgkmcnt(5)
	v_lshrrev_b32_e32 v29, 16, v12
	s_waitcnt lgkmcnt(3)
	v_lshrrev_b32_e32 v25, 16, v19
	v_lshrrev_b32_e32 v30, 16, v13
	v_lshrrev_b32_e32 v31, 16, v16
	v_lshrrev_b32_e32 v32, 16, v17
	s_waitcnt lgkmcnt(2)
	v_lshrrev_b32_e32 v26, 16, v20
	v_lshrrev_b32_e32 v27, 16, v21
	s_waitcnt lgkmcnt(0)
	v_lshrrev_b32_e32 v28, 16, v23
	v_lshrrev_b32_e32 v33, 16, v18
	s_mov_b32 s4, 0xbb9c
	s_movk_i32 s1, 0x3b9c
	s_mov_b32 s5, 0xb8b4
	s_movk_i32 s0, 0x38b4
	v_lshrrev_b32_e32 v24, 16, v15
	s_movk_i32 s6, 0x34f2
	s_waitcnt lgkmcnt(0)
	; wave barrier
	s_waitcnt vmcnt(2)
	v_mul_f16_sdwa v34, v4, v29 dst_sel:DWORD dst_unused:UNUSED_PAD src0_sel:WORD_1 src1_sel:DWORD
	v_mul_f16_sdwa v36, v5, v30 dst_sel:DWORD dst_unused:UNUSED_PAD src0_sel:WORD_1 src1_sel:DWORD
	;; [unrolled: 1-line block ×4, first 2 shown]
	s_waitcnt vmcnt(1)
	v_mul_f16_sdwa v44, v25, v9 dst_sel:DWORD dst_unused:UNUSED_PAD src0_sel:DWORD src1_sel:WORD_1
	v_mul_f16_sdwa v35, v4, v12 dst_sel:DWORD dst_unused:UNUSED_PAD src0_sel:WORD_1 src1_sel:DWORD
	v_mul_f16_sdwa v37, v5, v13 dst_sel:DWORD dst_unused:UNUSED_PAD src0_sel:WORD_1 src1_sel:DWORD
	;; [unrolled: 1-line block ×4, first 2 shown]
	v_mul_f16_sdwa v45, v19, v9 dst_sel:DWORD dst_unused:UNUSED_PAD src0_sel:DWORD src1_sel:WORD_1
	v_fma_f16 v12, v4, v12, v34
	v_fma_f16 v13, v5, v13, v36
	v_mul_f16_sdwa v34, v26, v10 dst_sel:DWORD dst_unused:UNUSED_PAD src0_sel:DWORD src1_sel:WORD_1
	v_mul_f16_sdwa v36, v20, v10 dst_sel:DWORD dst_unused:UNUSED_PAD src0_sel:DWORD src1_sel:WORD_1
	v_fma_f16 v16, v6, v16, v38
	v_fma_f16 v17, v7, v17, v40
	v_mul_f16_sdwa v38, v27, v11 dst_sel:DWORD dst_unused:UNUSED_PAD src0_sel:DWORD src1_sel:WORD_1
	v_mul_f16_sdwa v40, v21, v11 dst_sel:DWORD dst_unused:UNUSED_PAD src0_sel:DWORD src1_sel:WORD_1
	v_fma_f16 v19, v19, v9, v44
	v_fma_f16 v5, v5, v30, -v37
	v_fma_f16 v20, v20, v10, v34
	v_fma_f16 v10, v26, v10, -v36
	;; [unrolled: 2-line block ×3, first 2 shown]
	v_add_f16_e32 v26, v17, v19
	v_mul_f16_sdwa v42, v8, v33 dst_sel:DWORD dst_unused:UNUSED_PAD src0_sel:WORD_1 src1_sel:DWORD
	v_mul_f16_sdwa v43, v8, v18 dst_sel:DWORD dst_unused:UNUSED_PAD src0_sel:WORD_1 src1_sel:DWORD
	v_fma_f16 v4, v4, v29, -v35
	s_waitcnt vmcnt(0)
	v_mul_f16_sdwa v29, v28, v22 dst_sel:DWORD dst_unused:UNUSED_PAD src0_sel:DWORD src1_sel:WORD_1
	v_mul_f16_sdwa v30, v23, v22 dst_sel:DWORD dst_unused:UNUSED_PAD src0_sel:DWORD src1_sel:WORD_1
	v_fma_f16 v6, v6, v31, -v39
	v_fma_f16 v7, v7, v32, -v41
	;; [unrolled: 1-line block ×3, first 2 shown]
	v_sub_f16_e32 v27, v5, v11
	v_add_f16_e32 v31, v13, v21
	v_fma_f16 v26, v26, -0.5, v15
	v_fma_f16 v18, v8, v18, v42
	v_fma_f16 v8, v8, v33, -v43
	v_fma_f16 v23, v23, v22, v29
	v_fma_f16 v22, v28, v22, -v30
	v_add_f16_e32 v25, v15, v13
	v_sub_f16_e32 v28, v7, v9
	v_sub_f16_e32 v29, v13, v17
	;; [unrolled: 1-line block ×5, first 2 shown]
	v_fma_f16 v15, v31, -0.5, v15
	v_fma_f16 v31, v27, s4, v26
	v_fma_f16 v26, v27, s1, v26
	v_add_f16_e32 v25, v25, v17
	v_add_f16_e32 v29, v29, v30
	;; [unrolled: 1-line block ×3, first 2 shown]
	v_fma_f16 v32, v28, s1, v15
	v_fma_f16 v31, v28, s5, v31
	;; [unrolled: 1-line block ×4, first 2 shown]
	v_add_f16_e32 v28, v7, v9
	v_add_f16_e32 v25, v25, v19
	v_fma_f16 v28, v28, -0.5, v24
	v_sub_f16_e32 v13, v13, v21
	v_add_f16_e32 v25, v25, v21
	v_fma_f16 v32, v27, s5, v32
	v_fma_f16 v15, v27, s0, v15
	;; [unrolled: 1-line block ×3, first 2 shown]
	v_sub_f16_e32 v17, v17, v19
	v_fma_f16 v31, v29, s6, v31
	v_fma_f16 v26, v29, s6, v26
	;; [unrolled: 1-line block ×5, first 2 shown]
	v_sub_f16_e32 v21, v5, v7
	v_sub_f16_e32 v30, v11, v9
	v_fma_f16 v28, v13, s4, v28
	v_add_f16_e32 v27, v24, v5
	v_add_f16_e32 v21, v21, v30
	v_fma_f16 v28, v17, s5, v28
	v_add_f16_e32 v27, v27, v7
	v_fma_f16 v19, v21, s6, v19
	v_fma_f16 v21, v21, s6, v28
	v_add_f16_e32 v28, v5, v11
	v_add_f16_e32 v27, v27, v9
	v_fma_f16 v24, v28, -0.5, v24
	v_add_f16_e32 v27, v27, v11
	v_fma_f16 v28, v17, s4, v24
	v_sub_f16_e32 v5, v7, v5
	v_sub_f16_e32 v7, v9, v11
	v_fma_f16 v9, v17, s1, v24
	v_add_f16_e32 v11, v18, v20
	v_fma_f16 v28, v13, s0, v28
	v_add_f16_e32 v5, v5, v7
	v_fma_f16 v9, v13, s5, v9
	v_fma_f16 v11, v11, -0.5, v12
	v_sub_f16_e32 v13, v6, v22
	v_fma_f16 v7, v5, s6, v28
	v_fma_f16 v17, v13, s4, v11
	v_sub_f16_e32 v24, v8, v10
	v_sub_f16_e32 v28, v16, v18
	;; [unrolled: 1-line block ×3, first 2 shown]
	v_fma_f16 v11, v13, s1, v11
	v_fma_f16 v17, v24, s5, v17
	v_add_f16_e32 v28, v28, v30
	v_fma_f16 v11, v24, s0, v11
	v_fma_f16 v17, v28, s6, v17
	;; [unrolled: 1-line block ×3, first 2 shown]
	v_add_f16_e32 v28, v16, v23
	v_fma_f16 v5, v5, s6, v9
	v_add_f16_e32 v9, v12, v16
	v_fma_f16 v12, v28, -0.5, v12
	v_add_f16_e32 v9, v9, v18
	v_fma_f16 v28, v24, s1, v12
	v_fma_f16 v12, v24, s4, v12
	v_add_f16_e32 v24, v8, v10
	v_add_f16_e32 v9, v9, v20
	v_sub_f16_e32 v30, v18, v16
	v_sub_f16_e32 v32, v20, v23
	v_fma_f16 v24, v24, -0.5, v4
	v_sub_f16_e32 v16, v16, v23
	v_add_f16_e32 v9, v9, v23
	v_fma_f16 v28, v13, s5, v28
	v_add_f16_e32 v30, v30, v32
	v_fma_f16 v12, v13, s0, v12
	v_fma_f16 v23, v16, s1, v24
	v_sub_f16_e32 v18, v18, v20
	v_fma_f16 v28, v30, s6, v28
	v_fma_f16 v12, v30, s6, v12
	;; [unrolled: 1-line block ×3, first 2 shown]
	v_sub_f16_e32 v23, v6, v8
	v_sub_f16_e32 v30, v22, v10
	v_fma_f16 v24, v16, s4, v24
	v_add_f16_e32 v23, v23, v30
	v_fma_f16 v24, v18, s5, v24
	v_fma_f16 v20, v23, s6, v20
	;; [unrolled: 1-line block ×3, first 2 shown]
	v_add_f16_e32 v24, v6, v22
	v_add_f16_e32 v13, v4, v6
	v_fma_f16 v4, v24, -0.5, v4
	v_add_f16_e32 v13, v13, v8
	v_fma_f16 v24, v18, s4, v4
	v_sub_f16_e32 v6, v8, v6
	v_sub_f16_e32 v8, v10, v22
	v_fma_f16 v4, v18, s1, v4
	v_fma_f16 v24, v16, s0, v24
	v_add_f16_e32 v6, v6, v8
	v_fma_f16 v4, v16, s5, v4
	v_add_f16_e32 v13, v13, v10
	v_fma_f16 v8, v6, s6, v24
	v_fma_f16 v4, v6, s6, v4
	v_mul_f16_e32 v10, 0xb8b4, v20
	s_movk_i32 s4, 0x3a79
	v_mul_f16_e32 v20, 0x3a79, v20
	v_add_f16_e32 v13, v13, v22
	v_fma_f16 v10, v17, s4, v10
	v_mul_f16_e32 v18, 0xbb9c, v8
	v_mul_f16_e32 v24, 0xbb9c, v4
	s_mov_b32 s4, 0xb4f2
	v_fma_f16 v17, v17, s0, v20
	v_mul_f16_e32 v8, 0x34f2, v8
	v_mul_f16_e32 v4, 0xb4f2, v4
	v_add_f16_e32 v6, v25, v9
	v_add_f16_e32 v16, v31, v10
	v_fma_f16 v18, v28, s6, v18
	v_fma_f16 v24, v12, s4, v24
	v_mul_f16_e32 v32, 0xb8b4, v23
	s_mov_b32 s4, 0xba79
	v_add_f16_e32 v34, v27, v13
	v_add_f16_e32 v20, v19, v17
	v_fma_f16 v8, v28, s1, v8
	v_fma_f16 v4, v12, s1, v4
	v_mul_f16_e32 v23, 0xba79, v23
	v_add_f16_e32 v22, v29, v18
	v_add_f16_e32 v30, v15, v24
	v_fma_f16 v32, v11, s4, v32
	v_add_f16_e32 v28, v7, v8
	v_add_f16_e32 v12, v5, v4
	v_fma_f16 v11, v11, s0, v23
	v_sub_f16_e32 v7, v7, v8
	v_pack_b32_f16 v6, v6, v34
	v_pack_b32_f16 v8, v16, v20
	v_add_f16_e32 v33, v26, v32
	v_add_f16_e32 v23, v21, v11
	v_sub_f16_e32 v9, v25, v9
	v_sub_f16_e32 v13, v27, v13
	ds_write2_b32 v1, v6, v8 offset1:9
	v_pack_b32_f16 v6, v22, v28
	v_pack_b32_f16 v8, v30, v12
	v_sub_f16_e32 v10, v31, v10
	v_sub_f16_e32 v18, v29, v18
	;; [unrolled: 1-line block ×7, first 2 shown]
	ds_write2_b32 v1, v6, v8 offset0:18 offset1:27
	v_pack_b32_f16 v6, v33, v23
	v_pack_b32_f16 v8, v9, v13
	ds_write2_b32 v1, v6, v8 offset0:36 offset1:45
	v_pack_b32_f16 v6, v10, v17
	v_pack_b32_f16 v7, v18, v7
	;; [unrolled: 1-line block ×4, first 2 shown]
	ds_write2_b32 v1, v6, v7 offset0:54 offset1:63
	ds_write2_b32 v1, v4, v5 offset0:72 offset1:81
	s_waitcnt lgkmcnt(0)
	; wave barrier
	s_waitcnt lgkmcnt(0)
	s_and_saveexec_b64 s[0:1], vcc
	s_cbranch_execz .LBB0_24
; %bb.23:
	v_lshl_add_u32 v6, v0, 2, v14
	v_mov_b32_e32 v4, s3
	v_add_co_u32_e32 v7, vcc, s2, v2
	v_mov_b32_e32 v1, 0
	v_addc_co_u32_e32 v8, vcc, v4, v3, vcc
	ds_read2_b32 v[4:5], v6 offset1:9
	v_lshlrev_b64 v[2:3], 2, v[0:1]
	v_add_co_u32_e32 v2, vcc, v7, v2
	v_addc_co_u32_e32 v3, vcc, v8, v3, vcc
	s_waitcnt lgkmcnt(0)
	global_store_dword v[2:3], v4, off
	v_add_u32_e32 v2, 9, v0
	v_mov_b32_e32 v3, v1
	v_lshlrev_b64 v[2:3], 2, v[2:3]
	v_add_co_u32_e32 v2, vcc, v7, v2
	v_addc_co_u32_e32 v3, vcc, v8, v3, vcc
	global_store_dword v[2:3], v5, off
	v_add_u32_e32 v2, 18, v0
	v_mov_b32_e32 v3, v1
	ds_read2_b32 v[4:5], v6 offset0:18 offset1:27
	v_lshlrev_b64 v[2:3], 2, v[2:3]
	v_add_co_u32_e32 v2, vcc, v7, v2
	v_addc_co_u32_e32 v3, vcc, v8, v3, vcc
	s_waitcnt lgkmcnt(0)
	global_store_dword v[2:3], v4, off
	v_add_u32_e32 v2, 27, v0
	v_mov_b32_e32 v3, v1
	v_lshlrev_b64 v[2:3], 2, v[2:3]
	v_add_co_u32_e32 v2, vcc, v7, v2
	v_addc_co_u32_e32 v3, vcc, v8, v3, vcc
	global_store_dword v[2:3], v5, off
	v_add_u32_e32 v2, 36, v0
	v_mov_b32_e32 v3, v1
	ds_read2_b32 v[4:5], v6 offset0:36 offset1:45
	v_lshlrev_b64 v[2:3], 2, v[2:3]
	v_add_co_u32_e32 v2, vcc, v7, v2
	v_addc_co_u32_e32 v3, vcc, v8, v3, vcc
	s_waitcnt lgkmcnt(0)
	global_store_dword v[2:3], v4, off
	v_add_u32_e32 v2, 45, v0
	v_mov_b32_e32 v3, v1
	v_lshlrev_b64 v[2:3], 2, v[2:3]
	v_add_co_u32_e32 v2, vcc, v7, v2
	v_addc_co_u32_e32 v3, vcc, v8, v3, vcc
	global_store_dword v[2:3], v5, off
	v_add_u32_e32 v2, 54, v0
	v_mov_b32_e32 v3, v1
	ds_read2_b32 v[4:5], v6 offset0:54 offset1:63
	v_lshlrev_b64 v[2:3], 2, v[2:3]
	v_add_co_u32_e32 v2, vcc, v7, v2
	v_addc_co_u32_e32 v3, vcc, v8, v3, vcc
	s_waitcnt lgkmcnt(0)
	global_store_dword v[2:3], v4, off
	v_add_u32_e32 v2, 63, v0
	v_mov_b32_e32 v3, v1
	v_lshlrev_b64 v[2:3], 2, v[2:3]
	v_add_co_u32_e32 v2, vcc, v7, v2
	v_addc_co_u32_e32 v3, vcc, v8, v3, vcc
	global_store_dword v[2:3], v5, off
	v_add_u32_e32 v2, 0x48, v0
	v_mov_b32_e32 v3, v1
	v_lshlrev_b64 v[2:3], 2, v[2:3]
	ds_read2_b32 v[4:5], v6 offset0:72 offset1:81
	v_add_u32_e32 v0, 0x51, v0
	v_add_co_u32_e32 v2, vcc, v7, v2
	v_lshlrev_b64 v[0:1], 2, v[0:1]
	v_addc_co_u32_e32 v3, vcc, v8, v3, vcc
	v_add_co_u32_e32 v0, vcc, v7, v0
	v_addc_co_u32_e32 v1, vcc, v8, v1, vcc
	s_waitcnt lgkmcnt(0)
	global_store_dword v[2:3], v4, off
	global_store_dword v[0:1], v5, off
.LBB0_24:
	s_endpgm
	.section	.rodata,"a",@progbits
	.p2align	6, 0x0
	.amdhsa_kernel fft_rtc_back_len90_factors_3_3_10_wgs_63_tpt_9_halfLds_half_ip_CI_unitstride_sbrr_C2R_dirReg
		.amdhsa_group_segment_fixed_size 0
		.amdhsa_private_segment_fixed_size 0
		.amdhsa_kernarg_size 88
		.amdhsa_user_sgpr_count 6
		.amdhsa_user_sgpr_private_segment_buffer 1
		.amdhsa_user_sgpr_dispatch_ptr 0
		.amdhsa_user_sgpr_queue_ptr 0
		.amdhsa_user_sgpr_kernarg_segment_ptr 1
		.amdhsa_user_sgpr_dispatch_id 0
		.amdhsa_user_sgpr_flat_scratch_init 0
		.amdhsa_user_sgpr_private_segment_size 0
		.amdhsa_uses_dynamic_stack 0
		.amdhsa_system_sgpr_private_segment_wavefront_offset 0
		.amdhsa_system_sgpr_workgroup_id_x 1
		.amdhsa_system_sgpr_workgroup_id_y 0
		.amdhsa_system_sgpr_workgroup_id_z 0
		.amdhsa_system_sgpr_workgroup_info 0
		.amdhsa_system_vgpr_workitem_id 0
		.amdhsa_next_free_vgpr 46
		.amdhsa_next_free_sgpr 22
		.amdhsa_reserve_vcc 1
		.amdhsa_reserve_flat_scratch 0
		.amdhsa_float_round_mode_32 0
		.amdhsa_float_round_mode_16_64 0
		.amdhsa_float_denorm_mode_32 3
		.amdhsa_float_denorm_mode_16_64 3
		.amdhsa_dx10_clamp 1
		.amdhsa_ieee_mode 1
		.amdhsa_fp16_overflow 0
		.amdhsa_exception_fp_ieee_invalid_op 0
		.amdhsa_exception_fp_denorm_src 0
		.amdhsa_exception_fp_ieee_div_zero 0
		.amdhsa_exception_fp_ieee_overflow 0
		.amdhsa_exception_fp_ieee_underflow 0
		.amdhsa_exception_fp_ieee_inexact 0
		.amdhsa_exception_int_div_zero 0
	.end_amdhsa_kernel
	.text
.Lfunc_end0:
	.size	fft_rtc_back_len90_factors_3_3_10_wgs_63_tpt_9_halfLds_half_ip_CI_unitstride_sbrr_C2R_dirReg, .Lfunc_end0-fft_rtc_back_len90_factors_3_3_10_wgs_63_tpt_9_halfLds_half_ip_CI_unitstride_sbrr_C2R_dirReg
                                        ; -- End function
	.section	.AMDGPU.csdata,"",@progbits
; Kernel info:
; codeLenInByte = 6096
; NumSgprs: 26
; NumVgprs: 46
; ScratchSize: 0
; MemoryBound: 0
; FloatMode: 240
; IeeeMode: 1
; LDSByteSize: 0 bytes/workgroup (compile time only)
; SGPRBlocks: 3
; VGPRBlocks: 11
; NumSGPRsForWavesPerEU: 26
; NumVGPRsForWavesPerEU: 46
; Occupancy: 5
; WaveLimiterHint : 1
; COMPUTE_PGM_RSRC2:SCRATCH_EN: 0
; COMPUTE_PGM_RSRC2:USER_SGPR: 6
; COMPUTE_PGM_RSRC2:TRAP_HANDLER: 0
; COMPUTE_PGM_RSRC2:TGID_X_EN: 1
; COMPUTE_PGM_RSRC2:TGID_Y_EN: 0
; COMPUTE_PGM_RSRC2:TGID_Z_EN: 0
; COMPUTE_PGM_RSRC2:TIDIG_COMP_CNT: 0
	.type	__hip_cuid_2f72ae5ec016440c,@object ; @__hip_cuid_2f72ae5ec016440c
	.section	.bss,"aw",@nobits
	.globl	__hip_cuid_2f72ae5ec016440c
__hip_cuid_2f72ae5ec016440c:
	.byte	0                               ; 0x0
	.size	__hip_cuid_2f72ae5ec016440c, 1

	.ident	"AMD clang version 19.0.0git (https://github.com/RadeonOpenCompute/llvm-project roc-6.4.0 25133 c7fe45cf4b819c5991fe208aaa96edf142730f1d)"
	.section	".note.GNU-stack","",@progbits
	.addrsig
	.addrsig_sym __hip_cuid_2f72ae5ec016440c
	.amdgpu_metadata
---
amdhsa.kernels:
  - .args:
      - .actual_access:  read_only
        .address_space:  global
        .offset:         0
        .size:           8
        .value_kind:     global_buffer
      - .offset:         8
        .size:           8
        .value_kind:     by_value
      - .actual_access:  read_only
        .address_space:  global
        .offset:         16
        .size:           8
        .value_kind:     global_buffer
      - .actual_access:  read_only
        .address_space:  global
        .offset:         24
        .size:           8
        .value_kind:     global_buffer
      - .offset:         32
        .size:           8
        .value_kind:     by_value
      - .actual_access:  read_only
        .address_space:  global
        .offset:         40
        .size:           8
        .value_kind:     global_buffer
      - .actual_access:  read_only
        .address_space:  global
        .offset:         48
        .size:           8
        .value_kind:     global_buffer
      - .offset:         56
        .size:           4
        .value_kind:     by_value
      - .actual_access:  read_only
        .address_space:  global
        .offset:         64
        .size:           8
        .value_kind:     global_buffer
      - .actual_access:  read_only
        .address_space:  global
        .offset:         72
        .size:           8
        .value_kind:     global_buffer
      - .address_space:  global
        .offset:         80
        .size:           8
        .value_kind:     global_buffer
    .group_segment_fixed_size: 0
    .kernarg_segment_align: 8
    .kernarg_segment_size: 88
    .language:       OpenCL C
    .language_version:
      - 2
      - 0
    .max_flat_workgroup_size: 63
    .name:           fft_rtc_back_len90_factors_3_3_10_wgs_63_tpt_9_halfLds_half_ip_CI_unitstride_sbrr_C2R_dirReg
    .private_segment_fixed_size: 0
    .sgpr_count:     26
    .sgpr_spill_count: 0
    .symbol:         fft_rtc_back_len90_factors_3_3_10_wgs_63_tpt_9_halfLds_half_ip_CI_unitstride_sbrr_C2R_dirReg.kd
    .uniform_work_group_size: 1
    .uses_dynamic_stack: false
    .vgpr_count:     46
    .vgpr_spill_count: 0
    .wavefront_size: 64
amdhsa.target:   amdgcn-amd-amdhsa--gfx906
amdhsa.version:
  - 1
  - 2
...

	.end_amdgpu_metadata
